;; amdgpu-corpus repo=ROCm/rocFFT kind=compiled arch=gfx906 opt=O3
	.text
	.amdgcn_target "amdgcn-amd-amdhsa--gfx906"
	.amdhsa_code_object_version 6
	.protected	bluestein_single_back_len1152_dim1_sp_op_CI_CI ; -- Begin function bluestein_single_back_len1152_dim1_sp_op_CI_CI
	.globl	bluestein_single_back_len1152_dim1_sp_op_CI_CI
	.p2align	8
	.type	bluestein_single_back_len1152_dim1_sp_op_CI_CI,@function
bluestein_single_back_len1152_dim1_sp_op_CI_CI: ; @bluestein_single_back_len1152_dim1_sp_op_CI_CI
; %bb.0:
	s_load_dwordx4 s[16:19], s[4:5], 0x28
	v_mul_u32_u24_e32 v1, 0x1c8, v0
	v_add_u32_sdwa v54, s6, v1 dst_sel:DWORD dst_unused:UNUSED_PAD src0_sel:DWORD src1_sel:WORD_1
	v_mov_b32_e32 v55, 0
	s_waitcnt lgkmcnt(0)
	v_cmp_gt_u64_e32 vcc, s[16:17], v[54:55]
	s_and_saveexec_b64 s[0:1], vcc
	s_cbranch_execz .LBB0_18
; %bb.1:
	s_load_dwordx4 s[0:3], s[4:5], 0x18
	s_load_dwordx4 s[12:15], s[4:5], 0x0
	v_mov_b32_e32 v10, 0xffffe980
	s_waitcnt lgkmcnt(0)
	s_load_dwordx4 s[8:11], s[0:1], 0x0
	s_movk_i32 s0, 0x90
	v_mul_lo_u16_sdwa v1, v1, s0 dst_sel:DWORD dst_unused:UNUSED_PAD src0_sel:WORD_1 src1_sel:DWORD
	v_sub_u16_e32 v77, v0, v1
	v_lshlrev_b32_e32 v78, 3, v77
	s_waitcnt lgkmcnt(0)
	v_mad_u64_u32 v[0:1], s[6:7], s10, v54, 0
	v_mad_u64_u32 v[2:3], s[6:7], s8, v77, 0
	s_mul_i32 s1, s9, 0x900
	s_mul_i32 s10, s8, 0x900
	v_mad_u64_u32 v[4:5], s[6:7], s11, v54, v[1:2]
	global_load_dwordx2 v[63:64], v78, s[12:13]
	v_add_u32_e32 v25, 0x1800, v78
	v_mad_u64_u32 v[5:6], s[6:7], s9, v77, v[3:4]
	v_mov_b32_e32 v1, v4
	v_lshlrev_b64 v[0:1], 3, v[0:1]
	v_mov_b32_e32 v6, s19
	v_mov_b32_e32 v3, v5
	v_add_co_u32_e32 v4, vcc, s18, v0
	v_addc_co_u32_e32 v5, vcc, v6, v1, vcc
	v_lshlrev_b64 v[0:1], 3, v[2:3]
	s_mul_hi_u32 s6, s8, 0x900
	v_add_co_u32_e32 v0, vcc, v4, v0
	v_addc_co_u32_e32 v1, vcc, v5, v1, vcc
	s_add_i32 s1, s6, s1
	v_mov_b32_e32 v3, s1
	v_add_co_u32_e32 v2, vcc, s10, v0
	v_addc_co_u32_e32 v3, vcc, v1, v3, vcc
	global_load_dwordx2 v[4:5], v[0:1], off
	global_load_dwordx2 v[6:7], v[2:3], off
	v_mov_b32_e32 v0, s13
	v_add_co_u32_e32 v1, vcc, s12, v78
	s_movk_i32 s6, 0x1000
	v_addc_co_u32_e32 v8, vcc, 0, v0, vcc
	v_add_co_u32_e32 v0, vcc, s6, v1
	v_addc_co_u32_e32 v1, vcc, 0, v8, vcc
	v_mov_b32_e32 v8, s1
	v_add_co_u32_e32 v2, vcc, s10, v2
	v_addc_co_u32_e32 v3, vcc, v3, v8, vcc
	global_load_dwordx2 v[52:53], v78, s[12:13] offset:3456
	global_load_dwordx2 v[67:68], v78, s[12:13] offset:2304
	;; [unrolled: 1-line block ×3, first 2 shown]
	global_load_dwordx2 v[65:66], v[0:1], off offset:512
	global_load_dwordx2 v[61:62], v[0:1], off offset:2816
	v_mov_b32_e32 v11, s1
	global_load_dwordx2 v[8:9], v[2:3], off
	v_add_co_u32_e32 v2, vcc, s10, v2
	s_mul_i32 s6, s9, 0xffffe980
	v_addc_co_u32_e32 v3, vcc, v3, v11, vcc
	s_sub_i32 s9, s6, s8
	v_mad_u64_u32 v[10:11], s[6:7], s8, v10, v[2:3]
	global_load_dwordx2 v[2:3], v[2:3], off
	v_mov_b32_e32 v14, s1
	v_add_u32_e32 v11, s9, v11
	global_load_dwordx2 v[12:13], v[10:11], off
	v_add_co_u32_e32 v10, vcc, s10, v10
	v_addc_co_u32_e32 v11, vcc, v11, v14, vcc
	v_mov_b32_e32 v16, s1
	global_load_dwordx2 v[14:15], v[10:11], off
	v_add_co_u32_e32 v10, vcc, s10, v10
	v_addc_co_u32_e32 v11, vcc, v11, v16, vcc
	v_mov_b32_e32 v18, s1
	global_load_dwordx2 v[55:56], v[0:1], off offset:3968
	global_load_dwordx2 v[59:60], v[0:1], off offset:1664
	global_load_dwordx2 v[16:17], v[10:11], off
	v_add_co_u32_e32 v0, vcc, s10, v10
	v_addc_co_u32_e32 v1, vcc, v11, v18, vcc
	global_load_dwordx2 v[0:1], v[0:1], off
	s_load_dwordx4 s[8:11], s[2:3], 0x0
	v_add_co_u32_e32 v24, vcc, s0, v77
	v_lshlrev_b32_e32 v47, 5, v24
	s_load_dwordx2 s[2:3], s[4:5], 0x38
	s_movk_i32 s0, 0x60
	v_cmp_gt_u16_e64 s[0:1], s0, v77
	s_waitcnt vmcnt(14)
	v_mul_f32_e32 v11, v4, v64
	v_mul_f32_e32 v10, v5, v64
	v_fma_f32 v11, v5, v63, -v11
	v_fmac_f32_e32 v10, v4, v63
	s_waitcnt vmcnt(11)
	v_mul_f32_e32 v5, v6, v68
	v_mul_f32_e32 v4, v7, v68
	v_fma_f32 v5, v7, v67, -v5
	v_fmac_f32_e32 v4, v6, v67
	s_waitcnt vmcnt(7)
	v_mul_f32_e32 v6, v8, v66
	ds_write_b64 v78, v[4:5] offset:2304
	v_mul_f32_e32 v4, v9, v66
	v_fma_f32 v5, v9, v65, -v6
	v_fmac_f32_e32 v4, v8, v65
	ds_write_b64 v78, v[4:5] offset:4608
	v_add_u32_e32 v8, 0x800, v78
	s_waitcnt vmcnt(6)
	v_mul_f32_e32 v4, v3, v62
	v_fmac_f32_e32 v4, v2, v61
	v_mul_f32_e32 v2, v2, v62
	v_fma_f32 v5, v3, v61, -v2
	s_waitcnt vmcnt(5)
	v_mul_f32_e32 v2, v13, v58
	v_mul_f32_e32 v3, v12, v58
	v_fmac_f32_e32 v2, v12, v57
	v_fma_f32 v3, v13, v57, -v3
	ds_write_b64 v78, v[4:5] offset:6912
	ds_write2_b64 v78, v[10:11], v[2:3] offset1:144
	s_waitcnt vmcnt(4)
	v_mul_f32_e32 v2, v15, v53
	v_mul_f32_e32 v3, v14, v53
	v_fmac_f32_e32 v2, v14, v52
	v_fma_f32 v3, v15, v52, -v3
	ds_write_b64 v78, v[2:3] offset:3456
	s_waitcnt vmcnt(1)
	v_mul_f32_e32 v2, v17, v60
	v_mul_f32_e32 v3, v16, v60
	v_fmac_f32_e32 v2, v16, v59
	v_fma_f32 v3, v17, v59, -v3
	ds_write_b64 v78, v[2:3] offset:5760
	s_waitcnt vmcnt(0)
	v_mul_f32_e32 v2, v1, v56
	v_fmac_f32_e32 v2, v0, v55
	v_mul_f32_e32 v0, v0, v56
	v_fma_f32 v3, v1, v55, -v0
	v_add_u32_e32 v4, 0x1000, v78
	ds_write_b64 v78, v[2:3] offset:8064
	s_waitcnt lgkmcnt(0)
	s_barrier
	ds_read2_b64 v[0:3], v78 offset1:144
	ds_read2_b64 v[4:7], v4 offset0:64 offset1:208
	ds_read2_b64 v[8:11], v8 offset0:32 offset1:176
	;; [unrolled: 1-line block ×3, first 2 shown]
	s_waitcnt lgkmcnt(0)
	s_barrier
	v_sub_f32_e32 v4, v0, v4
	v_sub_f32_e32 v5, v1, v5
	;; [unrolled: 1-line block ×3, first 2 shown]
	v_fma_f32 v0, v0, 2.0, -v4
	v_sub_f32_e32 v13, v9, v13
	v_fma_f32 v8, v8, 2.0, -v12
	v_fma_f32 v1, v1, 2.0, -v5
	;; [unrolled: 1-line block ×3, first 2 shown]
	v_sub_f32_e32 v16, v0, v8
	v_sub_f32_e32 v17, v1, v9
	v_fma_f32 v20, v0, 2.0, -v16
	v_lshlrev_b16_e32 v0, 2, v77
	v_sub_f32_e32 v8, v2, v6
	v_sub_f32_e32 v9, v3, v7
	v_fma_f32 v21, v1, 2.0, -v17
	v_sub_f32_e32 v18, v4, v13
	v_add_f32_e32 v19, v5, v12
	v_lshlrev_b32_e32 v46, 3, v0
	v_fma_f32 v0, v2, 2.0, -v8
	v_fma_f32 v1, v3, 2.0, -v9
	v_sub_f32_e32 v2, v10, v14
	v_sub_f32_e32 v3, v11, v15
	v_fma_f32 v22, v4, 2.0, -v18
	v_fma_f32 v23, v5, 2.0, -v19
	;; [unrolled: 1-line block ×4, first 2 shown]
	v_sub_f32_e32 v4, v0, v4
	v_sub_f32_e32 v5, v1, v5
	;; [unrolled: 1-line block ×3, first 2 shown]
	v_add_f32_e32 v7, v9, v2
	v_fma_f32 v0, v0, 2.0, -v4
	v_fma_f32 v1, v1, 2.0, -v5
	;; [unrolled: 1-line block ×4, first 2 shown]
	ds_write_b128 v46, v[20:23]
	ds_write_b128 v46, v[16:19] offset:16
	ds_write_b128 v47, v[0:3]
	ds_write_b128 v47, v[4:7] offset:16
	v_add_u32_e32 v0, 0xc00, v78
	s_waitcnt lgkmcnt(0)
	s_barrier
	ds_read2_b64 v[16:19], v0 offset1:144
	ds_read2_b64 v[12:15], v25 offset1:144
	;; [unrolled: 1-line block ×3, first 2 shown]
                                        ; implicit-def: $vgpr20
	s_and_saveexec_b64 s[4:5], s[0:1]
	s_cbranch_execz .LBB0_3
; %bb.2:
	v_add_u32_e32 v0, 0x100, v78
	ds_read2st64_b64 v[4:7], v0 offset0:4 offset1:10
	ds_read_b64 v[20:21], v78 offset:8448
.LBB0_3:
	s_or_b64 exec, exec, s[4:5]
	v_and_b32_e32 v79, 3, v77
	v_lshlrev_b32_e32 v0, 4, v79
	global_load_dwordx4 v[0:3], v0, s[14:15]
	v_lshrrev_b32_e32 v22, 2, v77
	v_lshrrev_b32_e32 v23, 2, v24
	v_mul_u32_u24_e32 v22, 12, v22
	v_mul_u32_u24_e32 v23, 12, v23
	v_or_b32_e32 v22, v22, v79
	v_or_b32_e32 v23, v23, v79
	v_lshlrev_b32_e32 v81, 3, v22
	v_lshlrev_b32_e32 v80, 3, v23
	v_add_co_u32_e32 v48, vcc, 0x120, v77
	v_lshrrev_b32_e32 v82, 2, v48
	s_waitcnt vmcnt(0) lgkmcnt(0)
	s_barrier
	v_mul_f32_e32 v25, v17, v1
	v_mul_f32_e32 v26, v16, v1
	;; [unrolled: 1-line block ×12, first 2 shown]
	v_fma_f32 v16, v16, v0, -v25
	v_fmac_f32_e32 v26, v17, v0
	v_fma_f32 v17, v18, v0, -v29
	v_fma_f32 v18, v12, v2, -v27
	v_fmac_f32_e32 v28, v13, v2
	v_fma_f32 v6, v6, v0, -v33
	v_fmac_f32_e32 v22, v7, v0
	;; [unrolled: 2-line block ×3, first 2 shown]
	v_fmac_f32_e32 v30, v19, v0
	v_fma_f32 v19, v14, v2, -v31
	v_fmac_f32_e32 v32, v15, v2
	v_add_f32_e32 v14, v8, v16
	v_add_f32_e32 v20, v16, v18
	v_add_f32_e32 v21, v26, v28
	v_sub_f32_e32 v29, v16, v18
	v_add_f32_e32 v16, v10, v17
	v_add_f32_e32 v34, v6, v7
	;; [unrolled: 1-line block ×3, first 2 shown]
	v_sub_f32_e32 v27, v26, v28
	v_add_f32_e32 v15, v9, v26
	v_add_f32_e32 v25, v17, v19
	v_sub_f32_e32 v31, v30, v32
	v_add_f32_e32 v26, v11, v30
	v_add_f32_e32 v30, v30, v32
	;; [unrolled: 3-line block ×3, first 2 shown]
	v_fma_f32 v18, -0.5, v20, v8
	v_fma_f32 v19, -0.5, v21, v9
	;; [unrolled: 1-line block ×4, first 2 shown]
	v_sub_f32_e32 v12, v22, v23
	v_sub_f32_e32 v13, v6, v7
	v_fma_f32 v10, -0.5, v25, v10
	v_fmac_f32_e32 v11, -0.5, v30
	v_mov_b32_e32 v20, v18
	v_mov_b32_e32 v21, v19
	;; [unrolled: 1-line block ×4, first 2 shown]
	v_add_f32_e32 v15, v15, v28
	v_add_f32_e32 v17, v26, v32
	v_fmac_f32_e32 v18, 0xbf5db3d7, v27
	v_fmac_f32_e32 v19, 0x3f5db3d7, v29
	v_mov_b32_e32 v25, v10
	v_mov_b32_e32 v26, v11
	v_fmac_f32_e32 v20, 0x3f5db3d7, v27
	v_fmac_f32_e32 v21, 0xbf5db3d7, v29
	;; [unrolled: 1-line block ×8, first 2 shown]
	ds_write_b64 v81, v[18:19] offset:64
	ds_write2_b64 v81, v[14:15], v[20:21] offset1:4
	ds_write2_b64 v80, v[16:17], v[25:26] offset1:4
	ds_write_b64 v80, v[10:11] offset:64
	s_and_saveexec_b64 s[4:5], s[0:1]
	s_cbranch_execz .LBB0_5
; %bb.4:
	v_mul_f32_e32 v10, 0x3f5db3d7, v12
	v_add_f32_e32 v4, v4, v6
	v_add_f32_e32 v6, v10, v8
	v_mul_u32_u24_e32 v8, 12, v82
	v_mul_f32_e32 v11, 0x3f5db3d7, v13
	v_add_f32_e32 v5, v5, v22
	v_or_b32_e32 v8, v8, v79
	v_add_f32_e32 v5, v5, v23
	v_add_f32_e32 v4, v4, v7
	v_sub_f32_e32 v7, v9, v11
	v_lshlrev_b32_e32 v8, 3, v8
	ds_write2_b64 v8, v[4:5], v[6:7] offset1:4
	ds_write_b64 v8, v[44:45] offset:64
.LBB0_5:
	s_or_b64 exec, exec, s[4:5]
	s_movk_i32 s4, 0xab
	v_mul_lo_u16_sdwa v4, v77, s4 dst_sel:DWORD dst_unused:UNUSED_PAD src0_sel:BYTE_0 src1_sel:DWORD
	v_lshrrev_b16_e32 v34, 11, v4
	v_mul_lo_u16_e32 v4, 12, v34
	v_sub_u16_e32 v4, v77, v4
	v_and_b32_e32 v35, 0xff, v4
	v_mad_u64_u32 v[16:17], s[4:5], v35, 56, s[14:15]
	s_waitcnt lgkmcnt(0)
	s_barrier
	global_load_dwordx4 v[12:15], v[16:17], off offset:64
	global_load_dwordx4 v[8:11], v[16:17], off offset:80
	;; [unrolled: 1-line block ×3, first 2 shown]
	global_load_dwordx2 v[69:70], v[16:17], off offset:112
	v_add_u32_e32 v20, 0x800, v78
	v_add_u32_e32 v25, 0x1000, v78
	ds_read2_b64 v[16:19], v78 offset1:144
	v_add_u32_e32 v40, 0x1800, v78
	ds_read2_b64 v[20:23], v20 offset0:32 offset1:176
	ds_read2_b64 v[25:28], v25 offset0:64 offset1:208
	ds_read2_b64 v[29:32], v40 offset0:96 offset1:240
	s_waitcnt vmcnt(0) lgkmcnt(0)
	s_barrier
	v_mul_f32_e32 v36, v18, v13
	v_mul_f32_e32 v37, v21, v15
	;; [unrolled: 1-line block ×14, first 2 shown]
	v_fmac_f32_e32 v36, v19, v12
	v_fma_f32 v19, v20, v14, -v37
	v_fmac_f32_e32 v38, v21, v14
	v_fmac_f32_e32 v41, v23, v8
	v_fma_f32 v21, v25, v10, -v42
	v_fmac_f32_e32 v43, v26, v10
	v_fma_f32 v23, v29, v6, -v51
	;; [unrolled: 2-line block ×3, first 2 shown]
	v_fma_f32 v20, v22, v8, -v39
	v_fma_f32 v22, v27, v4, -v49
	v_fmac_f32_e32 v50, v28, v4
	v_fma_f32 v25, v31, v69, -v72
	v_fmac_f32_e32 v73, v32, v69
	v_sub_f32_e32 v21, v16, v21
	v_sub_f32_e32 v26, v17, v43
	;; [unrolled: 1-line block ×8, first 2 shown]
	v_fma_f32 v17, v17, 2.0, -v26
	v_fma_f32 v30, v38, 2.0, -v27
	v_sub_f32_e32 v27, v21, v27
	v_add_f32_e32 v33, v26, v23
	v_fma_f32 v16, v16, 2.0, -v21
	v_fma_f32 v19, v19, 2.0, -v23
	v_fma_f32 v31, v36, 2.0, -v28
	v_fma_f32 v20, v20, 2.0, -v25
	v_sub_f32_e32 v36, v22, v29
	v_add_f32_e32 v37, v28, v25
	v_sub_f32_e32 v25, v17, v30
	v_fma_f32 v26, v26, 2.0, -v33
	v_mov_b32_e32 v30, v27
	v_fma_f32 v18, v18, 2.0, -v22
	v_fma_f32 v32, v41, 2.0, -v29
	v_sub_f32_e32 v23, v16, v19
	v_fma_f32 v38, v21, 2.0, -v27
	v_fma_f32 v39, v28, 2.0, -v37
	;; [unrolled: 1-line block ×3, first 2 shown]
	v_mov_b32_e32 v17, v26
	v_fmac_f32_e32 v30, 0x3f3504f3, v36
	v_sub_f32_e32 v19, v18, v20
	v_sub_f32_e32 v20, v31, v32
	v_fma_f32 v32, v22, 2.0, -v36
	v_fma_f32 v22, v16, 2.0, -v23
	v_mov_b32_e32 v16, v38
	v_fmac_f32_e32 v17, 0xbf3504f3, v39
	v_fmac_f32_e32 v30, 0xbf3504f3, v37
	v_fma_f32 v18, v18, 2.0, -v19
	v_fma_f32 v21, v31, 2.0, -v20
	v_fmac_f32_e32 v16, 0xbf3504f3, v32
	v_fmac_f32_e32 v17, 0x3f3504f3, v32
	v_mov_b32_e32 v31, v33
	v_fma_f32 v32, v27, 2.0, -v30
	v_mul_u32_u24_e32 v27, 0x60, v34
	v_sub_f32_e32 v28, v23, v20
	v_add_f32_e32 v29, v25, v19
	v_sub_f32_e32 v18, v22, v18
	v_sub_f32_e32 v19, v41, v21
	v_fmac_f32_e32 v16, 0xbf3504f3, v39
	v_fmac_f32_e32 v31, 0x3f3504f3, v37
	v_or_b32_e32 v27, v27, v35
	v_fma_f32 v20, v23, 2.0, -v28
	v_fma_f32 v21, v25, 2.0, -v29
	;; [unrolled: 1-line block ×6, first 2 shown]
	v_fmac_f32_e32 v31, 0x3f3504f3, v36
	v_lshlrev_b32_e32 v83, 3, v27
	v_fma_f32 v33, v33, 2.0, -v31
	ds_write2_b64 v83, v[22:23], v[25:26] offset1:12
	ds_write2_b64 v83, v[20:21], v[32:33] offset0:24 offset1:36
	ds_write2_b64 v83, v[18:19], v[16:17] offset0:48 offset1:60
	;; [unrolled: 1-line block ×3, first 2 shown]
	v_add_u32_e32 v16, 0xc00, v78
	s_waitcnt lgkmcnt(0)
	s_barrier
	ds_read2_b64 v[32:35], v78 offset1:144
	ds_read2_b64 v[36:39], v16 offset1:144
	;; [unrolled: 1-line block ×3, first 2 shown]
	s_and_saveexec_b64 s[4:5], s[0:1]
	s_cbranch_execz .LBB0_7
; %bb.6:
	v_add_u32_e32 v16, 0x100, v78
	ds_read2st64_b64 v[28:31], v16 offset0:4 offset1:10
	ds_read_b64 v[44:45], v78 offset:8448
.LBB0_7:
	s_or_b64 exec, exec, s[4:5]
	v_add_co_u32_e32 v16, vcc, 0xffffffa0, v77
	v_addc_co_u32_e64 v17, s[4:5], 0, -1, vcc
	v_cndmask_b32_e64 v51, v17, 0, s[0:1]
	v_cndmask_b32_e64 v50, v16, v77, s[0:1]
	v_lshlrev_b64 v[16:17], 4, v[50:51]
	v_mov_b32_e32 v18, s15
	v_add_co_u32_e32 v16, vcc, s14, v16
	v_addc_co_u32_e32 v17, vcc, v18, v17, vcc
	s_mov_b32 s4, 0xaaab
	global_load_dwordx4 v[20:23], v[16:17], off offset:736
	v_mul_u32_u24_sdwa v16, v24, s4 dst_sel:DWORD dst_unused:UNUSED_PAD src0_sel:WORD_0 src1_sel:DWORD
	v_lshrrev_b32_e32 v51, 22, v16
	v_mul_lo_u16_e32 v16, 0x60, v51
	v_sub_u16_e32 v73, v24, v16
	v_lshlrev_b16_e32 v16, 4, v73
	v_add_co_u32_e32 v16, vcc, s14, v16
	v_addc_co_u32_e32 v17, vcc, 0, v18, vcc
	global_load_dwordx4 v[24:27], v[16:17], off offset:736
	v_mul_u32_u24_sdwa v16, v48, s4 dst_sel:DWORD dst_unused:UNUSED_PAD src0_sel:WORD_0 src1_sel:DWORD
	v_lshrrev_b32_e32 v16, 22, v16
	v_mul_lo_u16_e32 v16, 0x60, v16
	v_sub_u16_e32 v74, v48, v16
	v_lshlrev_b16_e32 v16, 4, v74
	v_add_co_u32_e32 v16, vcc, s14, v16
	v_addc_co_u32_e32 v17, vcc, 0, v18, vcc
	global_load_dwordx4 v[16:19], v[16:17], off offset:736
	s_movk_i32 s4, 0x5f
	v_cmp_lt_u16_e32 vcc, s4, v77
	s_movk_i32 s5, 0x120
	s_waitcnt vmcnt(0) lgkmcnt(0)
	s_barrier
	v_mul_f32_e32 v71, v37, v21
	v_mul_f32_e32 v72, v36, v21
	;; [unrolled: 1-line block ×4, first 2 shown]
	v_fma_f32 v36, v36, v20, -v71
	v_fmac_f32_e32 v72, v37, v20
	v_fmac_f32_e32 v76, v41, v22
	v_fma_f32 v37, v40, v22, -v75
	v_add_f32_e32 v41, v33, v72
	v_sub_f32_e32 v75, v72, v76
	v_mul_f32_e32 v84, v39, v25
	v_mul_f32_e32 v85, v38, v25
	;; [unrolled: 1-line block ×4, first 2 shown]
	v_fma_f32 v38, v38, v24, -v84
	v_fmac_f32_e32 v85, v39, v24
	v_fma_f32 v42, v42, v26, -v86
	v_fmac_f32_e32 v87, v43, v26
	v_add_f32_e32 v39, v32, v36
	v_add_f32_e32 v43, v72, v76
	v_mul_f32_e32 v48, v30, v17
	v_mul_f32_e32 v89, v45, v19
	;; [unrolled: 1-line block ×4, first 2 shown]
	v_fmac_f32_e32 v48, v31, v16
	v_fma_f32 v31, v44, v18, -v89
	v_fmac_f32_e32 v49, v45, v18
	v_add_f32_e32 v44, v34, v38
	v_add_f32_e32 v45, v38, v42
	v_sub_f32_e32 v86, v85, v87
	v_add_f32_e32 v71, v35, v85
	v_add_f32_e32 v72, v85, v87
	v_sub_f32_e32 v85, v38, v42
	v_add_f32_e32 v38, v39, v37
	v_add_f32_e32 v39, v41, v76
	v_fma_f32 v41, -0.5, v43, v33
	v_add_f32_e32 v40, v36, v37
	v_sub_f32_e32 v84, v36, v37
	v_fma_f32 v34, -0.5, v45, v34
	v_mov_b32_e32 v45, v41
	v_fma_f32 v30, v30, v16, -v88
	v_fma_f32 v40, -0.5, v40, v32
	v_fmac_f32_e32 v35, -0.5, v72
	v_fmac_f32_e32 v41, 0x3f5db3d7, v84
	v_fmac_f32_e32 v45, 0xbf5db3d7, v84
	v_mov_b32_e32 v84, 0x120
	v_add_f32_e32 v88, v30, v31
	v_add_f32_e32 v42, v44, v42
	v_mov_b32_e32 v44, v40
	v_mov_b32_e32 v72, v35
	v_add_f32_e32 v33, v48, v49
	v_cndmask_b32_e32 v84, 0, v84, vcc
	v_fma_f32 v32, -0.5, v88, v28
	v_fmac_f32_e32 v35, 0x3f5db3d7, v85
	v_fmac_f32_e32 v44, 0x3f5db3d7, v75
	;; [unrolled: 1-line block ×3, first 2 shown]
	v_fma_f32 v33, -0.5, v33, v29
	v_add_lshl_u32 v85, v50, v84, 3
	v_sub_f32_e32 v36, v48, v49
	v_add_f32_e32 v43, v71, v87
	v_fmac_f32_e32 v40, 0xbf5db3d7, v75
	v_mov_b32_e32 v71, v34
	v_mov_b32_e32 v75, v32
	v_sub_f32_e32 v37, v30, v31
	v_mov_b32_e32 v76, v33
	ds_write2_b64 v85, v[38:39], v[44:45] offset1:96
	ds_write_b64 v85, v[40:41] offset:1536
	v_mad_legacy_u16 v38, v51, s5, v73
	v_fmac_f32_e32 v34, 0xbf5db3d7, v86
	v_fmac_f32_e32 v71, 0x3f5db3d7, v86
	v_fmac_f32_e32 v75, 0xbf5db3d7, v36
	v_fmac_f32_e32 v76, 0x3f5db3d7, v37
	v_lshlrev_b32_e32 v86, 3, v38
	v_lshlrev_b32_e32 v84, 3, v74
	ds_write2_b64 v86, v[42:43], v[71:72] offset1:96
	ds_write_b64 v86, v[34:35] offset:1536
	s_and_saveexec_b64 s[4:5], s[0:1]
	s_cbranch_execz .LBB0_9
; %bb.8:
	v_mul_f32_e32 v34, 0x3f5db3d7, v36
	v_mul_f32_e32 v35, 0x3f5db3d7, v37
	v_add_f32_e32 v29, v29, v48
	v_add_f32_e32 v28, v28, v30
	;; [unrolled: 1-line block ×4, first 2 shown]
	v_sub_f32_e32 v31, v33, v35
	v_add_f32_e32 v30, v34, v32
	v_add_u32_e32 v32, 0x1800, v84
	ds_write2_b64 v32, v[28:29], v[30:31] offset0:96 offset1:192
	ds_write_b64 v84, v[75:76] offset:8448
.LBB0_9:
	s_or_b64 exec, exec, s[4:5]
	v_mad_u64_u32 v[36:37], s[4:5], v77, 24, s[14:15]
	s_movk_i32 s4, 0x1000
	s_movk_i32 s5, 0x1660
	v_add_co_u32_e32 v32, vcc, s4, v36
	v_addc_co_u32_e32 v33, vcc, 0, v37, vcc
	s_waitcnt lgkmcnt(0)
	s_barrier
	global_load_dwordx4 v[28:31], v[36:37], off offset:2272
	global_load_dwordx2 v[71:72], v[36:37], off offset:2288
	v_add_co_u32_e32 v36, vcc, s5, v36
	v_addc_co_u32_e32 v37, vcc, 0, v37, vcc
	global_load_dwordx4 v[32:35], v[32:33], off offset:1632
	v_add_u32_e32 v101, 0x800, v78
	global_load_dwordx2 v[73:74], v[36:37], off offset:16
	v_add_u32_e32 v103, 0x1800, v78
	ds_read2_b64 v[36:39], v78 offset1:144
	v_add_u32_e32 v102, 0x1000, v78
	ds_read2_b64 v[40:43], v101 offset0:32 offset1:176
	ds_read2_b64 v[48:51], v102 offset0:64 offset1:208
	ds_read2_b64 v[87:90], v103 offset0:96 offset1:240
	v_lshlrev_b32_e32 v44, 3, v77
	v_mov_b32_e32 v45, s13
	v_add_co_u32_e32 v95, vcc, s12, v44
	v_addc_co_u32_e32 v96, vcc, 0, v45, vcc
	s_movk_i32 s4, 0x2400
	v_add_u32_e32 v104, 0x400, v78
	v_add_u32_e32 v105, 0xc00, v78
	;; [unrolled: 1-line block ×3, first 2 shown]
	s_waitcnt vmcnt(3) lgkmcnt(2)
	v_mul_f32_e32 v44, v41, v29
	v_mul_f32_e32 v45, v40, v29
	s_waitcnt lgkmcnt(1)
	v_mul_f32_e32 v91, v49, v31
	v_mul_f32_e32 v92, v48, v31
	s_waitcnt vmcnt(2) lgkmcnt(0)
	v_mul_f32_e32 v93, v88, v72
	v_mul_f32_e32 v94, v87, v72
	v_fma_f32 v40, v40, v28, -v44
	v_fmac_f32_e32 v45, v41, v28
	v_fma_f32 v41, v48, v30, -v91
	v_fmac_f32_e32 v92, v49, v30
	v_fma_f32 v44, v87, v71, -v93
	v_fmac_f32_e32 v94, v88, v71
	s_waitcnt vmcnt(1)
	v_mul_f32_e32 v48, v43, v33
	v_mul_f32_e32 v49, v42, v33
	;; [unrolled: 1-line block ×4, first 2 shown]
	s_waitcnt vmcnt(0)
	v_mul_f32_e32 v91, v90, v74
	v_mul_f32_e32 v93, v89, v74
	v_fma_f32 v48, v42, v32, -v48
	v_fmac_f32_e32 v49, v43, v32
	v_fma_f32 v42, v50, v34, -v87
	v_fmac_f32_e32 v88, v51, v34
	;; [unrolled: 2-line block ×3, first 2 shown]
	v_sub_f32_e32 v50, v36, v41
	v_sub_f32_e32 v51, v37, v92
	;; [unrolled: 1-line block ×4, first 2 shown]
	v_fma_f32 v87, v36, 2.0, -v50
	v_fma_f32 v89, v37, 2.0, -v51
	;; [unrolled: 1-line block ×3, first 2 shown]
	v_sub_f32_e32 v36, v50, v44
	v_add_f32_e32 v37, v51, v41
	v_sub_f32_e32 v90, v38, v42
	v_sub_f32_e32 v88, v39, v88
	;; [unrolled: 1-line block ×4, first 2 shown]
	v_fma_f32 v40, v40, 2.0, -v41
	v_sub_f32_e32 v41, v89, v45
	v_fma_f32 v42, v50, 2.0, -v36
	v_fma_f32 v43, v51, 2.0, -v37
	;; [unrolled: 1-line block ×6, first 2 shown]
	v_sub_f32_e32 v40, v87, v40
	v_add_f32_e32 v39, v88, v44
	v_sub_f32_e32 v44, v50, v45
	v_sub_f32_e32 v45, v51, v48
	v_sub_f32_e32 v38, v90, v91
	ds_write_b64 v78, v[36:37] offset:6912
	v_fma_f32 v36, v87, 2.0, -v40
	v_fma_f32 v37, v89, 2.0, -v41
	ds_write_b64 v78, v[42:43] offset:2304
	ds_write_b64 v78, v[40:41] offset:4608
	v_fma_f32 v40, v50, 2.0, -v44
	v_fma_f32 v41, v51, 2.0, -v45
	;; [unrolled: 1-line block ×4, first 2 shown]
	ds_write2_b64 v78, v[36:37], v[40:41] offset1:144
	ds_write_b64 v78, v[48:49] offset:3456
	ds_write_b64 v78, v[44:45] offset:5760
	;; [unrolled: 1-line block ×3, first 2 shown]
	v_add_co_u32_e32 v36, vcc, s4, v95
	v_addc_co_u32_e32 v37, vcc, 0, v96, vcc
	s_movk_i32 s4, 0x2000
	v_add_co_u32_e32 v38, vcc, s4, v95
	v_addc_co_u32_e32 v39, vcc, 0, v96, vcc
	s_waitcnt lgkmcnt(0)
	s_barrier
	global_load_dwordx2 v[40:41], v[38:39], off offset:1024
	global_load_dwordx2 v[44:45], v[36:37], off offset:3456
	;; [unrolled: 1-line block ×4, first 2 shown]
	s_movk_i32 s4, 0x3000
	v_add_co_u32_e32 v36, vcc, s4, v95
	v_addc_co_u32_e32 v37, vcc, 0, v96, vcc
	s_movk_i32 s4, 0x4000
	v_add_co_u32_e32 v38, vcc, s4, v95
	v_addc_co_u32_e32 v39, vcc, 0, v96, vcc
	global_load_dwordx2 v[91:92], v[36:37], off offset:1536
	global_load_dwordx2 v[93:94], v[36:37], off offset:3840
	;; [unrolled: 1-line block ×4, first 2 shown]
	ds_read2_b64 v[36:39], v78 offset1:144
	s_waitcnt vmcnt(7) lgkmcnt(0)
	v_mul_f32_e32 v43, v37, v41
	v_mul_f32_e32 v42, v36, v41
	v_fma_f32 v41, v36, v40, -v43
	v_fmac_f32_e32 v42, v37, v40
	s_waitcnt vmcnt(5)
	v_mul_f32_e32 v48, v39, v88
	ds_write_b64 v78, v[41:42]
	v_mul_f32_e32 v100, v38, v88
	ds_read2_b64 v[40:43], v101 offset0:32 offset1:176
	v_fma_f32 v99, v38, v87, -v48
	ds_read2_b64 v[48:51], v102 offset0:64 offset1:208
	v_fmac_f32_e32 v100, v39, v87
	ds_read2_b64 v[36:39], v103 offset0:96 offset1:240
	s_waitcnt vmcnt(4) lgkmcnt(2)
	v_mul_f32_e32 v87, v41, v90
	v_mul_f32_e32 v88, v40, v90
	s_waitcnt vmcnt(3) lgkmcnt(1)
	v_mul_f32_e32 v107, v49, v92
	v_mul_f32_e32 v90, v48, v92
	;; [unrolled: 3-line block ×3, first 2 shown]
	v_mul_f32_e32 v109, v43, v45
	v_mul_f32_e32 v94, v42, v45
	s_waitcnt vmcnt(0)
	v_mul_f32_e32 v110, v51, v98
	v_mul_f32_e32 v45, v50, v98
	;; [unrolled: 1-line block ×4, first 2 shown]
	v_fma_f32 v87, v40, v89, -v87
	v_fmac_f32_e32 v88, v41, v89
	v_fma_f32 v89, v48, v91, -v107
	v_fmac_f32_e32 v90, v49, v91
	v_fma_f32 v91, v36, v93, -v108
	v_fmac_f32_e32 v92, v37, v93
	v_fma_f32 v93, v42, v44, -v109
	v_fmac_f32_e32 v94, v43, v44
	v_fma_f32 v44, v50, v97, -v110
	v_fmac_f32_e32 v45, v51, v97
	v_fma_f32 v97, v38, v95, -v111
	v_fmac_f32_e32 v98, v39, v95
	ds_write2_b64 v104, v[99:100], v[87:88] offset0:16 offset1:160
	ds_write2_b64 v105, v[93:94], v[89:90] offset0:48 offset1:192
	;; [unrolled: 1-line block ×3, first 2 shown]
	ds_write_b64 v78, v[97:98] offset:8064
	s_waitcnt lgkmcnt(0)
	s_barrier
	ds_read2_b64 v[36:39], v78 offset1:144
	ds_read2_b64 v[40:43], v102 offset0:64 offset1:208
	ds_read2_b64 v[48:51], v101 offset0:32 offset1:176
	;; [unrolled: 1-line block ×3, first 2 shown]
	s_waitcnt lgkmcnt(0)
	s_barrier
	v_sub_f32_e32 v40, v36, v40
	v_sub_f32_e32 v41, v37, v41
	;; [unrolled: 1-line block ×4, first 2 shown]
	v_fma_f32 v36, v36, 2.0, -v40
	v_fma_f32 v37, v37, 2.0, -v41
	;; [unrolled: 1-line block ×4, first 2 shown]
	v_add_f32_e32 v93, v40, v45
	v_sub_f32_e32 v91, v36, v48
	v_sub_f32_e32 v92, v37, v49
	;; [unrolled: 1-line block ×7, first 2 shown]
	v_fma_f32 v95, v36, 2.0, -v91
	v_fma_f32 v96, v37, 2.0, -v92
	;; [unrolled: 1-line block ×6, first 2 shown]
	v_sub_f32_e32 v36, v38, v36
	v_sub_f32_e32 v37, v39, v37
	v_fma_f32 v97, v40, 2.0, -v93
	v_fma_f32 v98, v41, 2.0, -v94
	;; [unrolled: 1-line block ×4, first 2 shown]
	v_add_f32_e32 v38, v42, v45
	v_sub_f32_e32 v39, v43, v44
	v_fma_f32 v42, v42, 2.0, -v38
	v_fma_f32 v43, v43, 2.0, -v39
	ds_write_b128 v46, v[95:98]
	ds_write_b128 v46, v[91:94] offset:16
	ds_write_b128 v47, v[40:43]
	ds_write_b128 v47, v[36:39] offset:16
	s_waitcnt lgkmcnt(0)
	s_barrier
	ds_read2_b64 v[40:43], v78 offset1:144
	ds_read2_b64 v[48:51], v105 offset1:144
	;; [unrolled: 1-line block ×3, first 2 shown]
	s_and_saveexec_b64 s[4:5], s[0:1]
	s_cbranch_execz .LBB0_11
; %bb.10:
	v_add_u32_e32 v36, 0x100, v78
	ds_read2st64_b64 v[36:39], v36 offset0:4 offset1:10
	ds_read_b64 v[75:76], v78 offset:8448
.LBB0_11:
	s_or_b64 exec, exec, s[4:5]
	s_waitcnt lgkmcnt(0)
	v_mul_f32_e32 v88, v3, v45
	v_fmac_f32_e32 v88, v2, v44
	v_mul_f32_e32 v44, v3, v44
	v_fma_f32 v45, v2, v45, -v44
	v_mul_f32_e32 v44, v1, v50
	v_mul_f32_e32 v87, v1, v49
	v_fma_f32 v90, v0, v51, -v44
	v_mul_f32_e32 v44, v3, v46
	v_fmac_f32_e32 v87, v0, v48
	v_mul_f32_e32 v48, v1, v48
	v_mul_f32_e32 v89, v1, v51
	v_fma_f32 v92, v2, v47, -v44
	v_mul_f32_e32 v44, v1, v39
	v_mul_f32_e32 v1, v1, v38
	v_fma_f32 v49, v0, v49, -v48
	v_fmac_f32_e32 v89, v0, v50
	v_mul_f32_e32 v91, v3, v47
	v_fmac_f32_e32 v44, v0, v38
	v_fma_f32 v1, v0, v39, -v1
	v_mul_f32_e32 v0, v3, v76
	v_mul_f32_e32 v3, v3, v75
	v_fmac_f32_e32 v91, v2, v46
	v_fmac_f32_e32 v0, v2, v75
	v_fma_f32 v2, v2, v76, -v3
	v_add_f32_e32 v3, v40, v87
	v_add_f32_e32 v46, v3, v88
	v_add_f32_e32 v3, v87, v88
	v_fma_f32 v48, -0.5, v3, v40
	v_sub_f32_e32 v3, v49, v45
	v_mov_b32_e32 v50, v48
	v_fmac_f32_e32 v50, 0xbf5db3d7, v3
	v_fmac_f32_e32 v48, 0x3f5db3d7, v3
	v_add_f32_e32 v3, v41, v49
	v_add_f32_e32 v47, v3, v45
	v_add_f32_e32 v3, v49, v45
	v_fma_f32 v49, -0.5, v3, v41
	v_sub_f32_e32 v3, v87, v88
	v_mov_b32_e32 v51, v49
	v_fmac_f32_e32 v51, 0x3f5db3d7, v3
	v_fmac_f32_e32 v49, 0xbf5db3d7, v3
	v_add_f32_e32 v3, v42, v89
	v_add_f32_e32 v75, v3, v91
	v_add_f32_e32 v3, v89, v91
	v_fma_f32 v42, -0.5, v3, v42
	v_sub_f32_e32 v3, v90, v92
	v_mov_b32_e32 v87, v42
	v_fmac_f32_e32 v87, 0xbf5db3d7, v3
	v_fmac_f32_e32 v42, 0x3f5db3d7, v3
	v_add_f32_e32 v3, v43, v90
	v_add_f32_e32 v76, v3, v92
	;; [unrolled: 1-line block ×3, first 2 shown]
	v_fmac_f32_e32 v43, -0.5, v3
	v_sub_f32_e32 v3, v89, v91
	v_mov_b32_e32 v88, v43
	v_fmac_f32_e32 v88, 0x3f5db3d7, v3
	v_fmac_f32_e32 v43, 0xbf5db3d7, v3
	v_add_f32_e32 v3, v44, v0
	v_add_f32_e32 v39, v1, v2
	v_fma_f32 v3, -0.5, v3, v36
	v_fma_f32 v40, -0.5, v39, v37
	v_sub_f32_e32 v41, v1, v2
	v_mov_b32_e32 v38, v3
	v_sub_f32_e32 v45, v44, v0
	v_mov_b32_e32 v39, v40
	v_fmac_f32_e32 v38, 0x3f5db3d7, v41
	v_fmac_f32_e32 v39, 0xbf5db3d7, v45
	s_barrier
	ds_write2_b64 v81, v[46:47], v[50:51] offset1:4
	ds_write_b64 v81, v[48:49] offset:64
	ds_write2_b64 v80, v[75:76], v[87:88] offset1:4
	ds_write_b64 v80, v[42:43] offset:64
	s_and_saveexec_b64 s[4:5], s[0:1]
	s_cbranch_execz .LBB0_13
; %bb.12:
	v_add_f32_e32 v1, v1, v37
	v_add_f32_e32 v1, v2, v1
	;; [unrolled: 1-line block ×4, first 2 shown]
	v_mul_u32_u24_e32 v2, 12, v82
	v_mul_f32_e32 v41, 0x3f5db3d7, v41
	v_mul_f32_e32 v42, 0x3f5db3d7, v45
	v_or_b32_e32 v2, v2, v79
	v_add_f32_e32 v37, v42, v40
	v_sub_f32_e32 v36, v3, v41
	v_lshlrev_b32_e32 v2, 3, v2
	ds_write2_b64 v2, v[0:1], v[36:37] offset1:4
	ds_write_b64 v2, v[38:39] offset:64
.LBB0_13:
	s_or_b64 exec, exec, s[4:5]
	s_waitcnt lgkmcnt(0)
	s_barrier
	ds_read2_b64 v[0:3], v78 offset1:144
	v_add_u32_e32 v36, 0x800, v78
	ds_read2_b64 v[40:43], v36 offset0:32 offset1:176
	v_add_u32_e32 v36, 0x1000, v78
	ds_read2_b64 v[44:47], v36 offset0:64 offset1:208
	;; [unrolled: 2-line block ×3, first 2 shown]
	s_waitcnt lgkmcnt(3)
	v_mul_f32_e32 v37, v13, v3
	v_fmac_f32_e32 v37, v12, v2
	v_mul_f32_e32 v2, v13, v2
	s_waitcnt lgkmcnt(2)
	v_mul_f32_e32 v13, v9, v43
	v_mul_f32_e32 v9, v9, v42
	v_fmac_f32_e32 v13, v8, v42
	v_fma_f32 v8, v8, v43, -v9
	s_waitcnt lgkmcnt(1)
	v_mul_f32_e32 v9, v11, v45
	v_mul_f32_e32 v11, v11, v44
	v_fmac_f32_e32 v9, v10, v44
	v_fma_f32 v10, v10, v45, -v11
	v_mul_f32_e32 v11, v5, v47
	v_mul_f32_e32 v5, v5, v46
	v_fmac_f32_e32 v11, v4, v46
	v_fma_f32 v4, v4, v47, -v5
	s_waitcnt lgkmcnt(0)
	v_mul_f32_e32 v5, v7, v49
	v_mul_f32_e32 v7, v7, v48
	v_fma_f32 v2, v12, v3, -v2
	v_mul_f32_e32 v3, v15, v41
	v_mul_f32_e32 v12, v15, v40
	v_fmac_f32_e32 v5, v6, v48
	v_fma_f32 v6, v6, v49, -v7
	v_mul_f32_e32 v7, v70, v51
	v_fmac_f32_e32 v3, v14, v40
	v_fma_f32 v12, v14, v41, -v12
	v_fmac_f32_e32 v7, v69, v50
	v_mul_f32_e32 v14, v70, v50
	v_fma_f32 v14, v69, v51, -v14
	v_sub_f32_e32 v9, v0, v9
	v_sub_f32_e32 v10, v1, v10
	;; [unrolled: 1-line block ×6, first 2 shown]
	v_fma_f32 v0, v0, 2.0, -v9
	v_fma_f32 v1, v1, 2.0, -v10
	;; [unrolled: 1-line block ×4, first 2 shown]
	v_sub_f32_e32 v4, v2, v4
	v_fma_f32 v15, v37, 2.0, -v11
	v_sub_f32_e32 v14, v8, v14
	v_fma_f32 v13, v13, 2.0, -v7
	v_add_f32_e32 v40, v9, v6
	v_fma_f32 v2, v2, 2.0, -v4
	v_fma_f32 v8, v8, 2.0, -v14
	v_sub_f32_e32 v3, v0, v3
	v_sub_f32_e32 v37, v1, v12
	;; [unrolled: 1-line block ×3, first 2 shown]
	v_fma_f32 v12, v9, 2.0, -v40
	v_sub_f32_e32 v13, v15, v13
	v_add_f32_e32 v14, v11, v14
	v_fma_f32 v0, v0, 2.0, -v3
	v_fma_f32 v42, v10, 2.0, -v41
	v_sub_f32_e32 v43, v2, v8
	v_fma_f32 v5, v15, 2.0, -v13
	v_sub_f32_e32 v15, v4, v7
	v_fma_f32 v10, v11, 2.0, -v14
	v_mov_b32_e32 v8, v12
	v_fma_f32 v11, v4, 2.0, -v15
	v_sub_f32_e32 v4, v0, v5
	v_fmac_f32_e32 v8, 0xbf3504f3, v10
	v_mov_b32_e32 v9, v42
	v_fma_f32 v1, v1, 2.0, -v37
	v_fma_f32 v2, v2, 2.0, -v43
	;; [unrolled: 1-line block ×3, first 2 shown]
	v_fmac_f32_e32 v9, 0xbf3504f3, v11
	v_fmac_f32_e32 v8, 0x3f3504f3, v11
	v_add_f32_e32 v0, v3, v43
	v_sub_f32_e32 v5, v1, v2
	v_fmac_f32_e32 v9, 0xbf3504f3, v10
	v_fma_f32 v10, v12, 2.0, -v8
	v_fma_f32 v12, v3, 2.0, -v0
	v_mov_b32_e32 v2, v40
	v_mov_b32_e32 v3, v41
	v_fmac_f32_e32 v2, 0x3f3504f3, v14
	v_fmac_f32_e32 v3, 0x3f3504f3, v15
	v_fma_f32 v7, v1, 2.0, -v5
	v_fma_f32 v11, v42, 2.0, -v9
	v_sub_f32_e32 v1, v37, v13
	v_fmac_f32_e32 v2, 0x3f3504f3, v15
	v_fmac_f32_e32 v3, 0xbf3504f3, v14
	v_fma_f32 v13, v37, 2.0, -v1
	v_fma_f32 v14, v40, 2.0, -v2
	;; [unrolled: 1-line block ×3, first 2 shown]
	s_barrier
	ds_write2_b64 v83, v[6:7], v[10:11] offset1:12
	ds_write2_b64 v83, v[12:13], v[14:15] offset0:24 offset1:36
	ds_write2_b64 v83, v[4:5], v[8:9] offset0:48 offset1:60
	;; [unrolled: 1-line block ×3, first 2 shown]
	v_add_u32_e32 v8, 0xc00, v78
	s_waitcnt lgkmcnt(0)
	s_barrier
	ds_read2_b64 v[4:7], v78 offset1:144
	ds_read2_b64 v[12:15], v8 offset1:144
	;; [unrolled: 1-line block ×3, first 2 shown]
	s_and_saveexec_b64 s[4:5], s[0:1]
	s_cbranch_execz .LBB0_15
; %bb.14:
	v_add_u32_e32 v0, 0x100, v78
	ds_read2st64_b64 v[0:3], v0 offset0:4 offset1:10
	ds_read_b64 v[38:39], v78 offset:8448
.LBB0_15:
	s_or_b64 exec, exec, s[4:5]
	s_waitcnt lgkmcnt(1)
	v_mul_f32_e32 v36, v21, v13
	v_fmac_f32_e32 v36, v20, v12
	v_mul_f32_e32 v12, v21, v12
	v_fma_f32 v12, v20, v13, -v12
	s_waitcnt lgkmcnt(0)
	v_mul_f32_e32 v13, v23, v9
	v_fmac_f32_e32 v13, v22, v8
	v_mul_f32_e32 v8, v23, v8
	v_fma_f32 v20, v22, v9, -v8
	v_mul_f32_e32 v8, v25, v14
	v_mul_f32_e32 v21, v25, v15
	v_fma_f32 v15, v24, v15, -v8
	v_mul_f32_e32 v8, v27, v10
	v_add_f32_e32 v9, v36, v13
	v_mul_f32_e32 v22, v27, v11
	v_fma_f32 v23, v26, v11, -v8
	v_add_f32_e32 v8, v4, v36
	v_fma_f32 v4, -0.5, v9, v4
	v_fmac_f32_e32 v22, v26, v10
	v_sub_f32_e32 v9, v12, v20
	v_mov_b32_e32 v10, v4
	v_add_f32_e32 v11, v12, v20
	v_fmac_f32_e32 v21, v24, v14
	v_fmac_f32_e32 v10, 0xbf5db3d7, v9
	;; [unrolled: 1-line block ×3, first 2 shown]
	v_add_f32_e32 v9, v5, v12
	v_fma_f32 v5, -0.5, v11, v5
	v_add_f32_e32 v8, v8, v13
	v_sub_f32_e32 v12, v36, v13
	v_mov_b32_e32 v11, v5
	v_add_f32_e32 v13, v21, v22
	v_fmac_f32_e32 v11, 0x3f5db3d7, v12
	v_fmac_f32_e32 v5, 0xbf5db3d7, v12
	v_add_f32_e32 v12, v6, v21
	v_fma_f32 v6, -0.5, v13, v6
	v_sub_f32_e32 v13, v15, v23
	v_mov_b32_e32 v14, v6
	v_fmac_f32_e32 v14, 0xbf5db3d7, v13
	v_fmac_f32_e32 v6, 0x3f5db3d7, v13
	v_add_f32_e32 v13, v7, v15
	v_add_f32_e32 v15, v15, v23
	v_fmac_f32_e32 v7, -0.5, v15
	v_add_f32_e32 v9, v9, v20
	v_sub_f32_e32 v20, v21, v22
	v_mov_b32_e32 v15, v7
	v_add_f32_e32 v12, v12, v22
	v_add_f32_e32 v13, v13, v23
	v_fmac_f32_e32 v15, 0x3f5db3d7, v20
	v_fmac_f32_e32 v7, 0xbf5db3d7, v20
	s_barrier
	ds_write2_b64 v85, v[8:9], v[10:11] offset1:96
	ds_write_b64 v85, v[4:5] offset:1536
	ds_write2_b64 v86, v[12:13], v[14:15] offset1:96
	ds_write_b64 v86, v[6:7] offset:1536
	s_and_saveexec_b64 s[4:5], s[0:1]
	s_cbranch_execz .LBB0_17
; %bb.16:
	v_mul_f32_e32 v4, v19, v38
	v_mul_f32_e32 v8, v17, v3
	v_fma_f32 v5, v18, v39, -v4
	v_mul_f32_e32 v4, v17, v2
	v_fmac_f32_e32 v8, v16, v2
	v_mul_f32_e32 v9, v19, v39
	v_fma_f32 v7, v16, v3, -v4
	v_add_f32_e32 v2, v8, v0
	v_fmac_f32_e32 v9, v18, v38
	v_add_f32_e32 v3, v2, v9
	v_add_f32_e32 v2, v7, v5
	;; [unrolled: 1-line block ×3, first 2 shown]
	v_fmac_f32_e32 v1, -0.5, v2
	v_sub_f32_e32 v2, v8, v9
	v_mov_b32_e32 v6, v1
	v_fmac_f32_e32 v6, 0xbf5db3d7, v2
	v_fmac_f32_e32 v1, 0x3f5db3d7, v2
	v_add_f32_e32 v2, v8, v9
	v_fmac_f32_e32 v0, -0.5, v2
	v_add_f32_e32 v4, v5, v4
	v_sub_f32_e32 v2, v7, v5
	v_mov_b32_e32 v5, v0
	v_fmac_f32_e32 v5, 0x3f5db3d7, v2
	v_fmac_f32_e32 v0, 0xbf5db3d7, v2
	v_add_u32_e32 v2, 0x1800, v84
	ds_write2_b64 v2, v[3:4], v[0:1] offset0:96 offset1:192
	ds_write_b64 v84, v[5:6] offset:8448
.LBB0_17:
	s_or_b64 exec, exec, s[4:5]
	v_add_u32_e32 v18, 0x800, v78
	s_waitcnt lgkmcnt(0)
	s_barrier
	ds_read2_b64 v[4:7], v18 offset0:32 offset1:176
	v_add_u32_e32 v19, 0x1000, v78
	ds_read2_b64 v[8:11], v19 offset0:64 offset1:208
	v_add_u32_e32 v20, 0x1800, v78
	ds_read2_b64 v[12:15], v20 offset0:96 offset1:240
	s_waitcnt lgkmcnt(2)
	v_mul_f32_e32 v21, v29, v5
	v_fmac_f32_e32 v21, v28, v4
	v_mul_f32_e32 v4, v29, v4
	v_fma_f32 v4, v28, v5, -v4
	s_waitcnt lgkmcnt(1)
	v_mul_f32_e32 v5, v31, v9
	v_fmac_f32_e32 v5, v30, v8
	v_mul_f32_e32 v8, v31, v8
	v_fma_f32 v8, v30, v9, -v8
	s_waitcnt lgkmcnt(0)
	v_mul_f32_e32 v9, v72, v13
	ds_read2_b64 v[0:3], v78 offset1:144
	v_fmac_f32_e32 v9, v71, v12
	v_mul_f32_e32 v12, v72, v12
	v_fma_f32 v12, v71, v13, -v12
	v_mul_f32_e32 v13, v33, v7
	v_fmac_f32_e32 v13, v32, v6
	v_mul_f32_e32 v6, v33, v6
	v_fma_f32 v22, v32, v7, -v6
	v_mul_f32_e32 v23, v35, v11
	v_mul_f32_e32 v6, v35, v10
	v_fmac_f32_e32 v23, v34, v10
	v_fma_f32 v10, v34, v11, -v6
	v_mul_f32_e32 v11, v74, v15
	v_mul_f32_e32 v6, v74, v14
	v_fmac_f32_e32 v11, v73, v14
	v_fma_f32 v14, v73, v15, -v6
	s_waitcnt lgkmcnt(0)
	v_sub_f32_e32 v15, v0, v5
	v_sub_f32_e32 v24, v1, v8
	;; [unrolled: 1-line block ×4, first 2 shown]
	v_fma_f32 v5, v0, 2.0, -v15
	v_fma_f32 v6, v1, 2.0, -v24
	;; [unrolled: 1-line block ×4, first 2 shown]
	v_sub_f32_e32 v0, v5, v0
	v_sub_f32_e32 v1, v6, v1
	v_fma_f32 v4, v5, 2.0, -v0
	v_fma_f32 v5, v6, 2.0, -v1
	v_add_f32_e32 v6, v15, v8
	v_sub_f32_e32 v21, v3, v10
	v_sub_f32_e32 v14, v22, v14
	v_fma_f32 v8, v15, 2.0, -v6
	v_sub_f32_e32 v15, v2, v23
	v_fma_f32 v12, v3, 2.0, -v21
	;; [unrolled: 2-line block ×4, first 2 shown]
	v_fma_f32 v2, v13, 2.0, -v23
	v_sub_f32_e32 v3, v12, v3
	v_mad_u64_u32 v[16:17], s[0:1], s10, v54, 0
	v_fma_f32 v9, v24, 2.0, -v7
	v_sub_f32_e32 v2, v10, v2
	v_fma_f32 v11, v12, 2.0, -v3
	v_add_f32_e32 v12, v15, v14
	v_sub_f32_e32 v13, v21, v23
	v_fma_f32 v10, v10, 2.0, -v2
	v_fma_f32 v14, v15, 2.0, -v12
	;; [unrolled: 1-line block ×3, first 2 shown]
	ds_write_b64 v78, v[8:9] offset:2304
	ds_write_b64 v78, v[0:1] offset:4608
	;; [unrolled: 1-line block ×3, first 2 shown]
	ds_write2_b64 v78, v[4:5], v[10:11] offset1:144
	ds_write_b64 v78, v[14:15] offset:3456
	ds_write_b64 v78, v[2:3] offset:5760
	;; [unrolled: 1-line block ×3, first 2 shown]
	s_waitcnt lgkmcnt(0)
	s_barrier
	ds_read2_b64 v[0:3], v78 offset1:144
	v_mov_b32_e32 v4, v17
	v_mad_u64_u32 v[4:5], s[0:1], s11, v54, v[4:5]
	s_mov_b32 s0, 0x1c71c71c
	s_waitcnt lgkmcnt(0)
	v_mul_f32_e32 v5, v64, v1
	v_fmac_f32_e32 v5, v63, v0
	v_cvt_f64_f32_e32 v[5:6], v5
	s_mov_b32 s1, 0x3f4c71c7
	v_mad_u64_u32 v[8:9], s[4:5], s8, v77, 0
	v_mul_f64 v[5:6], v[5:6], s[0:1]
	v_mul_f32_e32 v0, v64, v0
	v_fma_f32 v0, v63, v1, -v0
	v_cvt_f64_f32_e32 v[0:1], v0
	v_mov_b32_e32 v17, v4
	v_mov_b32_e32 v4, v9
	;; [unrolled: 1-line block ×3, first 2 shown]
	v_mul_f64 v[0:1], v[0:1], s[0:1]
	v_mad_u64_u32 v[9:10], s[4:5], s9, v77, v[4:5]
	v_cvt_f32_f64_e32 v10, v[5:6]
	ds_read2_b64 v[4:7], v18 offset0:32 offset1:176
	v_lshlrev_b64 v[8:9], 3, v[8:9]
	s_mul_hi_u32 s3, s8, 0x900
	s_mul_i32 s5, s8, 0x900
	v_cvt_f32_f64_e32 v11, v[0:1]
	s_waitcnt lgkmcnt(0)
	v_mul_f32_e32 v12, v68, v5
	v_fmac_f32_e32 v12, v67, v4
	v_mul_f32_e32 v4, v68, v4
	v_fma_f32 v4, v67, v5, -v4
	v_cvt_f64_f32_e32 v[12:13], v12
	v_cvt_f64_f32_e32 v[4:5], v4
	v_lshlrev_b64 v[0:1], 3, v[16:17]
	v_add_co_u32_e32 v15, vcc, s2, v0
	v_addc_co_u32_e32 v14, vcc, v14, v1, vcc
	v_mul_f64 v[0:1], v[12:13], s[0:1]
	v_mul_f64 v[4:5], v[4:5], s[0:1]
	v_add_co_u32_e32 v16, vcc, v15, v8
	v_addc_co_u32_e32 v17, vcc, v14, v9, vcc
	global_store_dwordx2 v[16:17], v[10:11], off
	ds_read2_b64 v[8:11], v19 offset0:64 offset1:208
	v_cvt_f32_f64_e32 v0, v[0:1]
	v_cvt_f32_f64_e32 v1, v[4:5]
	s_mul_i32 s2, s9, 0x900
	s_add_i32 s4, s3, s2
	s_waitcnt lgkmcnt(0)
	v_mul_f32_e32 v4, v66, v9
	v_fmac_f32_e32 v4, v65, v8
	v_mul_f32_e32 v8, v66, v8
	v_fma_f32 v8, v65, v9, -v8
	v_cvt_f64_f32_e32 v[4:5], v4
	v_cvt_f64_f32_e32 v[8:9], v8
	ds_read2_b64 v[12:15], v20 offset0:96 offset1:240
	v_mov_b32_e32 v18, s4
	v_add_co_u32_e32 v16, vcc, s5, v16
	v_addc_co_u32_e32 v17, vcc, v17, v18, vcc
	global_store_dwordx2 v[16:17], v[0:1], off
	v_mul_f64 v[0:1], v[4:5], s[0:1]
	v_mul_f64 v[4:5], v[8:9], s[0:1]
	s_waitcnt lgkmcnt(0)
	v_mul_f32_e32 v8, v62, v13
	v_fmac_f32_e32 v8, v61, v12
	v_cvt_f64_f32_e32 v[8:9], v8
	v_mul_f32_e32 v12, v62, v12
	v_fma_f32 v12, v61, v13, -v12
	v_cvt_f64_f32_e32 v[12:13], v12
	v_cvt_f32_f64_e32 v0, v[0:1]
	v_cvt_f32_f64_e32 v1, v[4:5]
	v_mul_f64 v[4:5], v[8:9], s[0:1]
	v_mul_f64 v[8:9], v[12:13], s[0:1]
	v_mov_b32_e32 v13, s4
	v_add_co_u32_e32 v12, vcc, s5, v16
	v_addc_co_u32_e32 v13, vcc, v17, v13, vcc
	global_store_dwordx2 v[12:13], v[0:1], off
	v_cvt_f32_f64_e32 v0, v[4:5]
	v_mul_f32_e32 v4, v58, v3
	v_fmac_f32_e32 v4, v57, v2
	v_cvt_f32_f64_e32 v1, v[8:9]
	v_cvt_f64_f32_e32 v[4:5], v4
	v_mul_f32_e32 v2, v58, v2
	v_fma_f32 v2, v57, v3, -v2
	v_mov_b32_e32 v9, s4
	v_cvt_f64_f32_e32 v[2:3], v2
	v_add_co_u32_e32 v8, vcc, s5, v12
	v_addc_co_u32_e32 v9, vcc, v13, v9, vcc
	global_store_dwordx2 v[8:9], v[0:1], off
	v_mul_f64 v[0:1], v[4:5], s[0:1]
	v_mul_f32_e32 v4, v53, v7
	v_fmac_f32_e32 v4, v52, v6
	v_mul_f64 v[2:3], v[2:3], s[0:1]
	v_cvt_f64_f32_e32 v[4:5], v4
	v_mul_f32_e32 v6, v53, v6
	v_fma_f32 v6, v52, v7, -v6
	v_cvt_f64_f32_e32 v[6:7], v6
	v_mul_f64 v[4:5], v[4:5], s[0:1]
	v_cvt_f32_f64_e32 v0, v[0:1]
	v_mov_b32_e32 v1, 0xffffe980
	v_mul_f64 v[6:7], v[6:7], s[0:1]
	v_mad_u64_u32 v[8:9], s[2:3], s8, v1, v[8:9]
	v_cvt_f32_f64_e32 v1, v[2:3]
	s_mul_i32 s2, s9, 0xffffe980
	s_sub_i32 s2, s2, s8
	v_add_u32_e32 v9, s2, v9
	global_store_dwordx2 v[8:9], v[0:1], off
	v_cvt_f32_f64_e32 v0, v[4:5]
	v_mul_f32_e32 v2, v60, v11
	v_mul_f32_e32 v4, v60, v10
	v_fmac_f32_e32 v2, v59, v10
	v_fma_f32 v4, v59, v11, -v4
	v_cvt_f32_f64_e32 v1, v[6:7]
	v_cvt_f64_f32_e32 v[2:3], v2
	v_cvt_f64_f32_e32 v[4:5], v4
	v_mov_b32_e32 v7, s4
	v_add_co_u32_e32 v6, vcc, s5, v8
	v_addc_co_u32_e32 v7, vcc, v9, v7, vcc
	global_store_dwordx2 v[6:7], v[0:1], off
	v_mul_f64 v[0:1], v[2:3], s[0:1]
	v_mul_f64 v[2:3], v[4:5], s[0:1]
	v_mul_f32_e32 v4, v56, v15
	v_mul_f32_e32 v8, v56, v14
	v_fmac_f32_e32 v4, v55, v14
	v_fma_f32 v8, v55, v15, -v8
	v_cvt_f64_f32_e32 v[4:5], v4
	v_cvt_f64_f32_e32 v[8:9], v8
	v_cvt_f32_f64_e32 v0, v[0:1]
	v_cvt_f32_f64_e32 v1, v[2:3]
	v_mul_f64 v[2:3], v[4:5], s[0:1]
	v_mul_f64 v[4:5], v[8:9], s[0:1]
	v_mov_b32_e32 v8, s4
	v_add_co_u32_e32 v6, vcc, s5, v6
	v_addc_co_u32_e32 v7, vcc, v7, v8, vcc
	global_store_dwordx2 v[6:7], v[0:1], off
	v_cvt_f32_f64_e32 v0, v[2:3]
	v_cvt_f32_f64_e32 v1, v[4:5]
	v_mov_b32_e32 v3, s4
	v_add_co_u32_e32 v2, vcc, s5, v6
	v_addc_co_u32_e32 v3, vcc, v7, v3, vcc
	global_store_dwordx2 v[2:3], v[0:1], off
.LBB0_18:
	s_endpgm
	.section	.rodata,"a",@progbits
	.p2align	6, 0x0
	.amdhsa_kernel bluestein_single_back_len1152_dim1_sp_op_CI_CI
		.amdhsa_group_segment_fixed_size 9216
		.amdhsa_private_segment_fixed_size 0
		.amdhsa_kernarg_size 104
		.amdhsa_user_sgpr_count 6
		.amdhsa_user_sgpr_private_segment_buffer 1
		.amdhsa_user_sgpr_dispatch_ptr 0
		.amdhsa_user_sgpr_queue_ptr 0
		.amdhsa_user_sgpr_kernarg_segment_ptr 1
		.amdhsa_user_sgpr_dispatch_id 0
		.amdhsa_user_sgpr_flat_scratch_init 0
		.amdhsa_user_sgpr_private_segment_size 0
		.amdhsa_uses_dynamic_stack 0
		.amdhsa_system_sgpr_private_segment_wavefront_offset 0
		.amdhsa_system_sgpr_workgroup_id_x 1
		.amdhsa_system_sgpr_workgroup_id_y 0
		.amdhsa_system_sgpr_workgroup_id_z 0
		.amdhsa_system_sgpr_workgroup_info 0
		.amdhsa_system_vgpr_workitem_id 0
		.amdhsa_next_free_vgpr 112
		.amdhsa_next_free_sgpr 20
		.amdhsa_reserve_vcc 1
		.amdhsa_reserve_flat_scratch 0
		.amdhsa_float_round_mode_32 0
		.amdhsa_float_round_mode_16_64 0
		.amdhsa_float_denorm_mode_32 3
		.amdhsa_float_denorm_mode_16_64 3
		.amdhsa_dx10_clamp 1
		.amdhsa_ieee_mode 1
		.amdhsa_fp16_overflow 0
		.amdhsa_exception_fp_ieee_invalid_op 0
		.amdhsa_exception_fp_denorm_src 0
		.amdhsa_exception_fp_ieee_div_zero 0
		.amdhsa_exception_fp_ieee_overflow 0
		.amdhsa_exception_fp_ieee_underflow 0
		.amdhsa_exception_fp_ieee_inexact 0
		.amdhsa_exception_int_div_zero 0
	.end_amdhsa_kernel
	.text
.Lfunc_end0:
	.size	bluestein_single_back_len1152_dim1_sp_op_CI_CI, .Lfunc_end0-bluestein_single_back_len1152_dim1_sp_op_CI_CI
                                        ; -- End function
	.section	.AMDGPU.csdata,"",@progbits
; Kernel info:
; codeLenInByte = 7168
; NumSgprs: 24
; NumVgprs: 112
; ScratchSize: 0
; MemoryBound: 0
; FloatMode: 240
; IeeeMode: 1
; LDSByteSize: 9216 bytes/workgroup (compile time only)
; SGPRBlocks: 2
; VGPRBlocks: 27
; NumSGPRsForWavesPerEU: 24
; NumVGPRsForWavesPerEU: 112
; Occupancy: 2
; WaveLimiterHint : 1
; COMPUTE_PGM_RSRC2:SCRATCH_EN: 0
; COMPUTE_PGM_RSRC2:USER_SGPR: 6
; COMPUTE_PGM_RSRC2:TRAP_HANDLER: 0
; COMPUTE_PGM_RSRC2:TGID_X_EN: 1
; COMPUTE_PGM_RSRC2:TGID_Y_EN: 0
; COMPUTE_PGM_RSRC2:TGID_Z_EN: 0
; COMPUTE_PGM_RSRC2:TIDIG_COMP_CNT: 0
	.type	__hip_cuid_331ff4590cfde57a,@object ; @__hip_cuid_331ff4590cfde57a
	.section	.bss,"aw",@nobits
	.globl	__hip_cuid_331ff4590cfde57a
__hip_cuid_331ff4590cfde57a:
	.byte	0                               ; 0x0
	.size	__hip_cuid_331ff4590cfde57a, 1

	.ident	"AMD clang version 19.0.0git (https://github.com/RadeonOpenCompute/llvm-project roc-6.4.0 25133 c7fe45cf4b819c5991fe208aaa96edf142730f1d)"
	.section	".note.GNU-stack","",@progbits
	.addrsig
	.addrsig_sym __hip_cuid_331ff4590cfde57a
	.amdgpu_metadata
---
amdhsa.kernels:
  - .args:
      - .actual_access:  read_only
        .address_space:  global
        .offset:         0
        .size:           8
        .value_kind:     global_buffer
      - .actual_access:  read_only
        .address_space:  global
        .offset:         8
        .size:           8
        .value_kind:     global_buffer
      - .actual_access:  read_only
        .address_space:  global
        .offset:         16
        .size:           8
        .value_kind:     global_buffer
      - .actual_access:  read_only
        .address_space:  global
        .offset:         24
        .size:           8
        .value_kind:     global_buffer
      - .actual_access:  read_only
        .address_space:  global
        .offset:         32
        .size:           8
        .value_kind:     global_buffer
      - .offset:         40
        .size:           8
        .value_kind:     by_value
      - .address_space:  global
        .offset:         48
        .size:           8
        .value_kind:     global_buffer
      - .address_space:  global
        .offset:         56
        .size:           8
        .value_kind:     global_buffer
      - .address_space:  global
        .offset:         64
        .size:           8
        .value_kind:     global_buffer
      - .address_space:  global
        .offset:         72
        .size:           8
        .value_kind:     global_buffer
      - .offset:         80
        .size:           4
        .value_kind:     by_value
      - .address_space:  global
        .offset:         88
        .size:           8
        .value_kind:     global_buffer
      - .address_space:  global
        .offset:         96
        .size:           8
        .value_kind:     global_buffer
    .group_segment_fixed_size: 9216
    .kernarg_segment_align: 8
    .kernarg_segment_size: 104
    .language:       OpenCL C
    .language_version:
      - 2
      - 0
    .max_flat_workgroup_size: 144
    .name:           bluestein_single_back_len1152_dim1_sp_op_CI_CI
    .private_segment_fixed_size: 0
    .sgpr_count:     24
    .sgpr_spill_count: 0
    .symbol:         bluestein_single_back_len1152_dim1_sp_op_CI_CI.kd
    .uniform_work_group_size: 1
    .uses_dynamic_stack: false
    .vgpr_count:     112
    .vgpr_spill_count: 0
    .wavefront_size: 64
amdhsa.target:   amdgcn-amd-amdhsa--gfx906
amdhsa.version:
  - 1
  - 2
...

	.end_amdgpu_metadata
